;; amdgpu-corpus repo=zjin-lcf/HeCBench kind=compiled arch=gfx90a opt=O3
	.text
	.amdgcn_target "amdgcn-amd-amdhsa--gfx90a"
	.amdhsa_code_object_version 6
	.protected	_Z4evalPKfPfmi          ; -- Begin function _Z4evalPKfPfmi
	.globl	_Z4evalPKfPfmi
	.p2align	8
	.type	_Z4evalPKfPfmi,@function
_Z4evalPKfPfmi:                         ; @_Z4evalPKfPfmi
; %bb.0:
	s_load_dword s2, s[4:5], 0x2c
	s_load_dwordx2 s[0:1], s[4:5], 0x10
	v_mov_b32_e32 v1, 0
	s_waitcnt lgkmcnt(0)
	s_and_b32 s2, s2, 0xffff
	s_mul_i32 s6, s6, s2
	v_add_u32_e32 v0, s6, v0
	v_cmp_gt_u64_e32 vcc, s[0:1], v[0:1]
	s_and_saveexec_b64 s[0:1], vcc
	s_cbranch_execz .LBB0_16
; %bb.1:
	s_load_dword s12, s[4:5], 0x18
	s_load_dwordx4 s[8:11], s[4:5], 0x0
	s_waitcnt lgkmcnt(0)
	s_cmp_lt_i32 s12, 1
	s_cbranch_scc1 .LBB0_12
; %bb.2:
	v_mad_u64_u32 v[2:3], s[0:1], v0, s12, 0
	s_ashr_i32 s2, s12, 31
	v_mov_b32_e32 v4, v3
	v_mad_u64_u32 v[0:1], s[0:1], v0, s2, v[4:5]
	v_mov_b32_e32 v3, v0
	v_lshlrev_b64 v[0:1], 2, v[2:3]
	v_mov_b32_e32 v3, s9
	v_add_co_u32_e32 v2, vcc, s8, v0
	v_addc_co_u32_e32 v3, vcc, v3, v1, vcc
	s_mov_b32 s8, 0
	v_mov_b32_e32 v5, 0
	s_brev_b32 s9, -2
	s_brev_b32 s13, 18
	s_mov_b32 s14, 0xfe5163ab
	s_mov_b32 s15, 0x3c439041
	;; [unrolled: 1-line block ×11, first 2 shown]
	v_mov_b32_e32 v0, 0xbe2aaa9d
	v_mov_b32_e32 v6, 0x3d2aabf7
	;; [unrolled: 1-line block ×3, first 2 shown]
	s_movk_i32 s25, 0x1f8
	s_mov_b32 s26, 0x3f2aaaab
	v_mov_b32_e32 v8, 0x3ecccdef
	s_mov_b32 s27, 0x3f317218
	s_movk_i32 s28, 0x204
	s_mov_b32 s29, 0x7f800000
	s_mov_b32 s30, 0x42b17218
	;; [unrolled: 1-line block ×4, first 2 shown]
	v_not_b32_e32 v9, 63
	v_not_b32_e32 v10, 31
	v_mov_b32_e32 v11, 0x7fc00000
	v_mov_b32_e32 v12, 0x41a00000
	;; [unrolled: 1-line block ×5, first 2 shown]
	s_branch .LBB0_4
.LBB0_3:                                ;   in Loop: Header=BB0_4 Depth=1
	s_or_b64 exec, exec, s[0:1]
	v_mul_f32_e32 v22, v18, v18
	v_mov_b32_e32 v23, 0x3c0881c4
	v_fmac_f32_e32 v23, 0xb94c1982, v22
	v_fma_f32 v23, v22, v23, v0
	v_mul_f32_e32 v23, v22, v23
	v_fmac_f32_e32 v18, v18, v23
	v_mov_b32_e32 v23, 0xbab64f3b
	v_fmac_f32_e32 v23, 0x37d75334, v22
	v_fma_f32 v23, v22, v23, v6
	v_fma_f32 v23, v22, v23, v7
	v_fma_f32 v22, v22, v23, 1.0
	v_and_b32_e32 v23, 1, v17
	v_lshlrev_b32_e32 v17, 30, v17
	v_cmp_eq_u32_e32 vcc, 0, v23
	v_and_b32_e32 v17, 0x80000000, v17
	v_xor_b32_e32 v16, v16, v15
	v_cndmask_b32_e32 v18, v22, v18, vcc
	v_xor_b32_e32 v16, v16, v17
	v_xor_b32_e32 v16, v16, v18
	v_cmp_class_f32_e64 vcc, v15, s25
	v_cndmask_b32_e32 v32, v11, v16, vcc
	v_mul_f32_e32 v15, v21, v21
	v_mov_b32_e32 v16, 0x3c0881c4
	v_fmac_f32_e32 v16, 0xb94c1982, v15
	v_fma_f32 v16, v15, v16, v0
	v_mul_f32_e32 v16, v15, v16
	v_fmac_f32_e32 v21, v21, v16
	v_mov_b32_e32 v16, 0xbab64f3b
	v_fmac_f32_e32 v16, 0x37d75334, v15
	v_fma_f32 v16, v15, v16, v6
	v_fma_f32 v16, v15, v16, v7
	v_fma_f32 v15, v15, v16, 1.0
	v_and_b32_e32 v16, 1, v4
	v_lshlrev_b32_e32 v4, 30, v4
	v_cmp_eq_u32_e32 vcc, 0, v16
	v_and_b32_e32 v4, 0x80000000, v4
	v_xor_b32_e32 v16, v20, v19
	v_cndmask_b32_e32 v15, v15, v21, vcc
	v_xor_b32_e32 v4, v16, v4
	v_xor_b32_e32 v4, v4, v15
	v_cmp_class_f32_e64 vcc, v19, s25
	v_cndmask_b32_e64 v35, v11, |v4|, vcc
	v_cndmask_b32_e32 v33, v11, v4, vcc
	v_frexp_mant_f32_e32 v4, v35
	v_cmp_gt_f32_e32 vcc, s26, v4
	v_cndmask_b32_e64 v15, 1.0, 2.0, vcc
	v_mul_f32_e32 v4, v4, v15
	v_add_f32_e32 v15, 1.0, v4
	v_rcp_f32_e32 v24, v15
	v_add_f32_e32 v16, -1.0, v15
	v_add_f32_e32 v17, -1.0, v4
	v_sub_f32_e32 v16, v4, v16
	v_mul_f32_e32 v4, v17, v24
	v_mul_f32_e32 v18, v15, v4
	v_fma_f32 v20, v4, v15, -v18
	v_fmac_f32_e32 v20, v4, v16
	v_add_f32_e32 v16, v18, v20
	v_sub_f32_e32 v19, v17, v16
	v_pk_add_f32 v[22:23], v[16:17], v[18:19] neg_lo:[0,1] neg_hi:[0,1]
	v_mov_b32_e32 v21, v16
	v_pk_add_f32 v[16:17], v[22:23], v[20:21] neg_lo:[0,1] neg_hi:[0,1]
	v_add_f32_e32 v15, v16, v17
	v_add_f32_e32 v15, v19, v15
	v_mul_f32_e32 v15, v24, v15
	v_add_f32_e32 v16, v4, v15
	v_sub_f32_e32 v4, v16, v4
	v_sub_f32_e32 v15, v15, v4
	v_mul_f32_e32 v4, v16, v16
	v_fma_f32 v17, v16, v16, -v4
	v_add_f32_e32 v18, v15, v15
	v_fmac_f32_e32 v17, v16, v18
	v_add_f32_e32 v18, v4, v17
	v_mov_b32_e32 v19, 0x3e91f4c4
	v_fmac_f32_e32 v19, 0x3e76c4e1, v18
	v_fma_f32 v19, v18, v19, v8
	v_sub_f32_e32 v4, v18, v4
	v_sub_f32_e32 v4, v17, v4
	v_mul_f32_e32 v17, v18, v19
	v_fma_f32 v20, v18, v19, -v17
	v_fmac_f32_e32 v20, v4, v19
	v_add_f32_e32 v19, v17, v20
	v_add_f32_e32 v21, 0x3f2aaaaa, v19
	v_sub_f32_e32 v17, v19, v17
	v_sub_f32_e32 v17, v20, v17
	v_add_f32_e32 v20, 0xbf2aaaaa, v21
	v_add_f32_e32 v17, 0x31739010, v17
	v_sub_f32_e32 v19, v19, v20
	v_pk_mul_f32 v[22:23], v[16:17], v[18:19]
	v_fma_f32 v20, v18, v16, -v22
	v_pk_add_f32 v[24:25], v[16:17], v[18:19]
	v_fmac_f32_e32 v20, v18, v15
	v_mov_b32_e32 v23, v25
	v_fmac_f32_e32 v20, v4, v16
	v_pk_add_f32 v[18:19], v[22:23], v[20:21]
	v_sub_f32_e32 v4, v18, v22
	v_sub_f32_e32 v17, v20, v4
	;; [unrolled: 1-line block ×3, first 2 shown]
	v_add_f32_e32 v24, v25, v4
	v_mov_b32_e32 v4, v19
	v_cvt_f64_f32_e32 v[22:23], v35
	v_pk_mul_f32 v[20:21], v[18:19], v[4:5]
	v_frexp_exp_i32_f64_e32 v4, v[22:23]
	v_subbrev_co_u32_e32 v4, vcc, 0, v4, vcc
	v_cvt_f32_i32_e32 v4, v4
	v_fma_f32 v22, v18, v19, -v20
	v_fmac_f32_e32 v22, v18, v24
	v_fmac_f32_e32 v22, v17, v19
	v_mul_f32_e32 v18, 0x3f317218, v4
	v_fma_f32 v24, v4, s27, -v18
	v_fmac_f32_e32 v24, 0xb102e308, v4
	v_ldexp_f32 v25, v16, 1
	v_add_f32_e32 v19, v20, v22
	v_pk_add_f32 v[16:17], v[18:19], v[24:25]
	v_mov_b32_e32 v26, v19
	v_mov_b32_e32 v27, v17
	;; [unrolled: 1-line block ×3, first 2 shown]
	v_pk_add_f32 v[20:21], v[26:27], v[20:21] neg_lo:[0,1] neg_hi:[0,1]
	v_mov_b32_e32 v23, v19
	v_ldexp_f32 v4, v15, 1
	v_pk_add_f32 v[20:21], v[22:23], v[20:21] neg_lo:[0,1] neg_hi:[0,1]
	v_add_f32_e32 v4, v4, v20
	v_add_f32_e32 v19, v4, v21
	v_pk_add_f32 v[20:21], v[16:17], v[18:19] neg_lo:[0,1] neg_hi:[0,1]
	v_pk_add_f32 v[22:23], v[16:17], v[18:19]
	v_mov_b32_e32 v26, v20
	v_mov_b32_e32 v27, v23
	;; [unrolled: 1-line block ×3, first 2 shown]
	v_pk_add_f32 v[26:27], v[24:25], v[26:27]
	v_mov_b32_e32 v4, v27
	v_pk_add_f32 v[28:29], v[4:5], v[16:17] neg_lo:[0,1] neg_hi:[0,1]
	v_mov_b32_e32 v15, v28
	v_mov_b32_e32 v26, v23
	;; [unrolled: 1-line block ×4, first 2 shown]
	v_pk_add_f32 v[20:21], v[24:25], v[20:21] neg_lo:[0,1] neg_hi:[0,1]
	v_pk_add_f32 v[30:31], v[22:23], v[14:15] neg_lo:[0,1] neg_hi:[0,1]
	;; [unrolled: 1-line block ×3, first 2 shown]
	v_mov_b32_e32 v24, v19
	v_pk_add_f32 v[16:17], v[24:25], v[16:17] neg_lo:[0,1] neg_hi:[0,1]
	v_mov_b32_e32 v30, v20
	v_pk_add_f32 v[18:19], v[30:31], v[16:17]
	v_mov_b32_e32 v22, v19
	v_pk_add_f32 v[22:23], v[18:19], v[22:23]
	v_pk_add_f32 v[24:25], v[4:5], v[22:23]
	v_mov_b32_e32 v21, v27
	v_mov_b32_e32 v19, v24
	v_pk_add_f32 v[26:27], v[18:19], v[20:21] neg_lo:[0,1] neg_hi:[0,1]
	v_mov_b32_e32 v17, v22
	v_sub_f32_e32 v4, v18, v26
	v_pk_add_f32 v[16:17], v[16:17], v[26:27] neg_lo:[0,1] neg_hi:[0,1]
	v_sub_f32_e32 v4, v20, v4
	v_add_f32_e32 v4, v16, v4
	v_add_f32_e32 v4, v4, v17
	v_cmp_eq_f32_e64 s[0:1], 1.0, v33
	v_add_f32_e32 v15, v24, v4
	v_cndmask_b32_e64 v34, v12, 1.0, s[0:1]
	v_sub_f32_e32 v16, v15, v24
	v_sub_f32_e32 v4, v4, v16
	v_mul_f32_e32 v16, v34, v15
	v_fma_f32 v15, v34, v15, -v16
	v_fmac_f32_e32 v15, v34, v4
	v_add_f32_e32 v4, v16, v15
	v_cmp_class_f32_e64 vcc, v16, s28
	v_sub_f32_e32 v17, v4, v16
	v_cndmask_b32_e32 v4, v4, v16, vcc
	v_cmp_eq_f32_e32 vcc, s30, v4
	v_cndmask_b32_e32 v16, 0, v13, vcc
	v_sub_f32_e32 v15, v15, v17
	v_sub_f32_e32 v17, v4, v16
	v_mul_f32_e32 v18, 0x3fb8aa3b, v17
	v_fma_f32 v19, v17, s31, -v18
	v_rndne_f32_e32 v20, v18
	v_fmac_f32_e32 v19, 0x32a5705f, v17
	v_sub_f32_e32 v18, v18, v20
	v_add_f32_e32 v18, v18, v19
	v_exp_f32_e32 v18, v18
	v_cvt_i32_f32_e32 v19, v20
	v_cmp_neq_f32_e64 vcc, |v4|, s29
	v_cndmask_b32_e32 v4, 0, v15, vcc
	v_cmp_ngt_f32_e32 vcc, s33, v17
	v_ldexp_f32 v15, v18, v19
	v_cndmask_b32_e32 v15, 0, v15, vcc
	v_cmp_nlt_f32_e32 vcc, s30, v17
	v_add_f32_e32 v4, v16, v4
	v_cndmask_b32_e32 v15, v14, v15, vcc
	v_fma_f32 v4, v15, v4, v15
	v_cmp_class_f32_e64 vcc, v15, s28
	v_cndmask_b32_e32 v4, v4, v15, vcc
	v_trunc_f32_e32 v15, v34
	v_cmp_eq_f32_e32 vcc, v15, v34
	v_mul_f32_e32 v15, 0.5, v34
	v_trunc_f32_e32 v16, v15
	v_cmp_neq_f32_e64 s[0:1], v16, v15
	s_and_b64 s[0:1], vcc, s[0:1]
	v_cndmask_b32_e64 v15, 1.0, v33, s[0:1]
	v_bfi_b32 v4, s9, v4, v15
	v_cndmask_b32_e32 v15, v11, v4, vcc
	v_cmp_gt_f32_e32 vcc, 0, v33
	v_cmp_eq_f32_e64 s[2:3], 0, v33
	v_cndmask_b32_e32 v4, v4, v15, vcc
	v_cmp_eq_f32_e32 vcc, s29, v35
	v_cndmask_b32_e64 v15, v14, 0, s[2:3]
	v_cndmask_b32_e64 v16, 0, v33, s[0:1]
	v_bfi_b32 v15, s9, v15, v16
	s_or_b64 vcc, s[2:3], vcc
	v_cndmask_b32_e32 v4, v4, v15, vcc
	v_cmp_o_f32_e32 vcc, v33, v33
	v_cndmask_b32_e32 v4, v11, v4, vcc
	v_add_co_u32_e32 v2, vcc, 4, v2
	v_fmac_f32_e32 v1, v32, v4
	s_cmp_lg_u32 s12, s8
	v_addc_co_u32_e32 v3, vcc, 0, v3, vcc
	s_cbranch_scc0 .LBB0_12
.LBB0_4:                                ; =>This Inner Loop Header: Depth=1
	global_load_dword v15, v[2:3], off
                                        ; implicit-def: $vgpr17
                                        ; implicit-def: $vgpr18
	s_waitcnt vmcnt(0)
	v_and_b32_e32 v16, 0x7fffffff, v15
	v_cmp_nlt_f32_e64 s[0:1], |v15|, s13
	s_and_saveexec_b64 s[2:3], s[0:1]
	s_xor_b64 s[6:7], exec, s[2:3]
	s_cbranch_execz .LBB0_6
; %bb.5:                                ;   in Loop: Header=BB0_4 Depth=1
	v_lshrrev_b32_e32 v4, 23, v16
	v_add_u32_e32 v4, 0xffffff88, v4
	v_cmp_lt_u32_e32 vcc, 63, v4
	v_cndmask_b32_e32 v17, 0, v9, vcc
	v_add_u32_e32 v4, v17, v4
	v_cmp_lt_u32_e64 s[0:1], 31, v4
	v_cndmask_b32_e64 v17, 0, v10, s[0:1]
	v_add_u32_e32 v4, v17, v4
	v_cmp_lt_u32_e64 s[2:3], 31, v4
	v_cndmask_b32_e64 v17, 0, v10, s[2:3]
	v_add_u32_e32 v17, v17, v4
	v_and_b32_e32 v4, 0x7fffff, v16
	v_or_b32_e32 v30, 0x800000, v4
	v_mad_u64_u32 v[18:19], s[4:5], v30, s14, 0
	v_mov_b32_e32 v4, v19
	v_mad_u64_u32 v[20:21], s[4:5], v30, s15, v[4:5]
	v_mov_b32_e32 v4, v21
	;; [unrolled: 2-line block ×6, first 2 shown]
	v_mad_u64_u32 v[30:31], s[4:5], v30, s20, v[4:5]
	v_cndmask_b32_e32 v19, v28, v24, vcc
	v_cndmask_b32_e32 v4, v30, v26, vcc
	;; [unrolled: 1-line block ×3, first 2 shown]
	v_cndmask_b32_e64 v21, v4, v19, s[0:1]
	v_cndmask_b32_e64 v4, v23, v4, s[0:1]
	v_cndmask_b32_e32 v23, v26, v22, vcc
	v_cndmask_b32_e64 v19, v19, v23, s[0:1]
	v_sub_u32_e32 v25, 32, v17
	v_cmp_eq_u32_e64 s[4:5], 0, v17
	v_cndmask_b32_e32 v17, v24, v20, vcc
	v_cndmask_b32_e64 v4, v4, v21, s[2:3]
	v_cndmask_b32_e64 v21, v21, v19, s[2:3]
	;; [unrolled: 1-line block ×3, first 2 shown]
	v_alignbit_b32 v26, v4, v21, v25
	v_cndmask_b32_e64 v19, v19, v20, s[2:3]
	v_cndmask_b32_e64 v4, v26, v4, s[4:5]
	v_alignbit_b32 v23, v21, v19, v25
	v_cndmask_b32_e64 v21, v23, v21, s[4:5]
	v_bfe_u32 v26, v4, 29, 1
	v_cndmask_b32_e32 v18, v22, v18, vcc
	v_alignbit_b32 v23, v4, v21, 30
	v_sub_u32_e32 v27, 0, v26
	v_cndmask_b32_e64 v17, v17, v18, s[0:1]
	v_xor_b32_e32 v28, v23, v27
	v_cndmask_b32_e64 v17, v20, v17, s[2:3]
	v_alignbit_b32 v18, v19, v17, v25
	v_ffbh_u32_e32 v20, v28
	v_cndmask_b32_e64 v18, v18, v19, s[4:5]
	v_add_u32_e32 v20, 1, v20
	v_cmp_ne_u32_e32 vcc, v23, v27
	v_alignbit_b32 v19, v21, v18, 30
	v_cndmask_b32_e32 v20, 33, v20, vcc
	v_alignbit_b32 v17, v18, v17, 30
	v_xor_b32_e32 v19, v19, v27
	v_sub_u32_e32 v21, 32, v20
	v_xor_b32_e32 v17, v17, v27
	v_alignbit_b32 v22, v28, v19, v21
	v_alignbit_b32 v17, v19, v17, v21
	v_alignbit_b32 v18, v22, v17, 9
	v_ffbh_u32_e32 v19, v18
	v_min_u32_e32 v19, 32, v19
	v_lshrrev_b32_e32 v24, 29, v4
	v_sub_u32_e32 v21, 31, v19
	v_alignbit_b32 v17, v18, v17, v21
	v_lshlrev_b32_e32 v18, 31, v24
	v_or_b32_e32 v21, 0x33800000, v18
	v_add_lshl_u32 v19, v19, v20, 23
	v_lshrrev_b32_e32 v17, 9, v17
	v_sub_u32_e32 v19, v21, v19
	v_or_b32_e32 v17, v19, v17
	v_alignbit_b32 v19, v20, v22, 9
	v_or_b32_e32 v18, v19, v18
	v_xor_b32_e32 v18, 1.0, v18
	v_mul_f32_e32 v19, 0x3fc90fda, v18
	v_fma_f32 v20, v18, s21, -v19
	v_fmac_f32_e32 v20, 0x33a22168, v18
	v_fmac_f32_e32 v20, 0x3fc90fda, v17
	v_lshrrev_b32_e32 v4, 30, v4
	v_add_f32_e32 v18, v19, v20
	v_add_u32_e32 v17, v26, v4
.LBB0_6:                                ;   in Loop: Header=BB0_4 Depth=1
	s_andn2_saveexec_b64 s[0:1], s[6:7]
; %bb.7:                                ;   in Loop: Header=BB0_4 Depth=1
	v_mul_f32_e64 v4, |v15|, s22
	v_rndne_f32_e32 v4, v4
	v_cvt_i32_f32_e32 v17, v4
	v_fma_f32 v18, v4, s23, |v15|
	v_fmac_f32_e32 v18, 0xb3a22168, v4
	v_fmac_f32_e32 v18, 0xa7c234c4, v4
; %bb.8:                                ;   in Loop: Header=BB0_4 Depth=1
	s_or_b64 exec, exec, s[0:1]
	s_add_i32 s8, s8, 1
	v_cvt_f32_u32_e32 v4, s8
	v_mul_f32_e32 v4, v15, v4
	v_mul_f32_e32 v4, v15, v4
	v_div_scale_f32 v19, s[0:1], s24, s24, v4
	v_rcp_f32_e32 v20, v19
	v_div_scale_f32 v21, vcc, v4, s24, v4
	v_fma_f32 v22, -v19, v20, 1.0
	v_fmac_f32_e32 v20, v22, v20
	v_mul_f32_e32 v22, v21, v20
	v_fma_f32 v23, -v19, v22, v21
	v_fmac_f32_e32 v22, v23, v20
	v_fma_f32 v19, -v19, v22, v21
	v_div_fmas_f32 v19, v19, v20, v22
	v_div_fixup_f32 v19, v19, s24, v4
	v_and_b32_e32 v20, 0x7fffffff, v19
	v_cmp_nlt_f32_e64 s[0:1], |v19|, s13
                                        ; implicit-def: $vgpr4
                                        ; implicit-def: $vgpr21
	s_and_saveexec_b64 s[2:3], s[0:1]
	s_xor_b64 s[6:7], exec, s[2:3]
	s_cbranch_execz .LBB0_10
; %bb.9:                                ;   in Loop: Header=BB0_4 Depth=1
	v_lshrrev_b32_e32 v4, 23, v20
	v_add_u32_e32 v4, 0xffffff88, v4
	v_cmp_lt_u32_e32 vcc, 63, v4
	v_cndmask_b32_e32 v21, 0, v9, vcc
	v_add_u32_e32 v4, v21, v4
	v_cmp_lt_u32_e64 s[0:1], 31, v4
	v_cndmask_b32_e64 v21, 0, v10, s[0:1]
	v_add_u32_e32 v4, v21, v4
	v_cmp_lt_u32_e64 s[2:3], 31, v4
	v_cndmask_b32_e64 v21, 0, v10, s[2:3]
	v_add_u32_e32 v21, v21, v4
	v_and_b32_e32 v4, 0x7fffff, v20
	v_or_b32_e32 v34, 0x800000, v4
	v_mad_u64_u32 v[22:23], s[4:5], v34, s14, 0
	v_mov_b32_e32 v4, v23
	v_mad_u64_u32 v[24:25], s[4:5], v34, s15, v[4:5]
	v_mov_b32_e32 v4, v25
	;; [unrolled: 2-line block ×6, first 2 shown]
	v_mad_u64_u32 v[34:35], s[4:5], v34, s20, v[4:5]
	v_cndmask_b32_e32 v23, v32, v28, vcc
	v_cndmask_b32_e32 v4, v34, v30, vcc
	;; [unrolled: 1-line block ×3, first 2 shown]
	v_cndmask_b32_e64 v25, v4, v23, s[0:1]
	v_cndmask_b32_e64 v4, v27, v4, s[0:1]
	v_cndmask_b32_e32 v27, v30, v26, vcc
	v_cndmask_b32_e64 v23, v23, v27, s[0:1]
	v_sub_u32_e32 v29, 32, v21
	v_cmp_eq_u32_e64 s[4:5], 0, v21
	v_cndmask_b32_e32 v21, v28, v24, vcc
	v_cndmask_b32_e64 v4, v4, v25, s[2:3]
	v_cndmask_b32_e64 v25, v25, v23, s[2:3]
	;; [unrolled: 1-line block ×3, first 2 shown]
	v_alignbit_b32 v30, v4, v25, v29
	v_cndmask_b32_e64 v23, v23, v24, s[2:3]
	v_cndmask_b32_e64 v4, v30, v4, s[4:5]
	v_alignbit_b32 v27, v25, v23, v29
	v_cndmask_b32_e64 v25, v27, v25, s[4:5]
	v_bfe_u32 v30, v4, 29, 1
	v_cndmask_b32_e32 v22, v26, v22, vcc
	v_alignbit_b32 v27, v4, v25, 30
	v_sub_u32_e32 v31, 0, v30
	v_cndmask_b32_e64 v21, v21, v22, s[0:1]
	v_xor_b32_e32 v32, v27, v31
	v_cndmask_b32_e64 v21, v24, v21, s[2:3]
	v_alignbit_b32 v22, v23, v21, v29
	v_ffbh_u32_e32 v24, v32
	v_cndmask_b32_e64 v22, v22, v23, s[4:5]
	v_add_u32_e32 v24, 1, v24
	v_cmp_ne_u32_e32 vcc, v27, v31
	v_alignbit_b32 v23, v25, v22, 30
	v_cndmask_b32_e32 v24, 33, v24, vcc
	v_alignbit_b32 v21, v22, v21, 30
	v_xor_b32_e32 v23, v23, v31
	v_sub_u32_e32 v25, 32, v24
	v_xor_b32_e32 v21, v21, v31
	v_alignbit_b32 v26, v32, v23, v25
	v_alignbit_b32 v21, v23, v21, v25
	;; [unrolled: 1-line block ×3, first 2 shown]
	v_ffbh_u32_e32 v23, v22
	v_min_u32_e32 v23, 32, v23
	v_lshrrev_b32_e32 v28, 29, v4
	v_sub_u32_e32 v25, 31, v23
	v_alignbit_b32 v21, v22, v21, v25
	v_lshlrev_b32_e32 v22, 31, v28
	v_or_b32_e32 v25, 0x33800000, v22
	v_add_lshl_u32 v23, v23, v24, 23
	v_lshrrev_b32_e32 v21, 9, v21
	v_sub_u32_e32 v23, v25, v23
	v_or_b32_e32 v21, v23, v21
	v_alignbit_b32 v23, v24, v26, 9
	v_or_b32_e32 v22, v23, v22
	v_xor_b32_e32 v22, 1.0, v22
	v_mul_f32_e32 v23, 0x3fc90fda, v22
	v_fma_f32 v24, v22, s21, -v23
	v_fmac_f32_e32 v24, 0x33a22168, v22
	v_fmac_f32_e32 v24, 0x3fc90fda, v21
	v_lshrrev_b32_e32 v4, 30, v4
	v_add_f32_e32 v21, v23, v24
	v_add_u32_e32 v4, v30, v4
.LBB0_10:                               ;   in Loop: Header=BB0_4 Depth=1
	s_andn2_saveexec_b64 s[0:1], s[6:7]
	s_cbranch_execz .LBB0_3
; %bb.11:                               ;   in Loop: Header=BB0_4 Depth=1
	v_mul_f32_e64 v4, |v19|, s22
	v_rndne_f32_e32 v22, v4
	v_cvt_i32_f32_e32 v4, v22
	v_fma_f32 v21, v22, s23, |v19|
	v_fmac_f32_e32 v21, 0xb3a22168, v22
	v_fmac_f32_e32 v21, 0xa7c234c4, v22
	s_branch .LBB0_3
.LBB0_12:
	v_mov_b32_e32 v0, 0
	global_load_dword v3, v0, s[10:11] glc
	s_brev_b32 s0, 1
	v_xor_b32_e32 v2, 0x80000000, v1
	v_cmp_eq_u32_e32 vcc, s0, v2
	s_mov_b64 s[2:3], 0
                                        ; implicit-def: $sgpr4_sgpr5
	s_branch .LBB0_14
.LBB0_13:                               ;   in Loop: Header=BB0_14 Depth=1
	s_or_b64 exec, exec, s[6:7]
	s_and_b64 s[0:1], exec, s[4:5]
	s_or_b64 s[2:3], s[0:1], s[2:3]
	s_andn2_b64 exec, exec, s[2:3]
	s_cbranch_execz .LBB0_16
.LBB0_14:                               ; =>This Inner Loop Header: Depth=1
	s_waitcnt vmcnt(0)
	v_cmp_eq_f32_e64 s[0:1], 0, v3
	v_cmp_gt_f32_e64 s[6:7], v3, -v1
	s_and_b64 s[0:1], vcc, s[0:1]
	s_or_b64 s[0:1], s[6:7], s[0:1]
	s_or_b64 s[4:5], s[4:5], exec
	s_and_saveexec_b64 s[6:7], s[0:1]
	s_cbranch_execz .LBB0_13
; %bb.15:                               ;   in Loop: Header=BB0_14 Depth=1
	global_atomic_cmpswap v4, v0, v[2:3], s[10:11] glc
	s_andn2_b64 s[4:5], s[4:5], exec
	s_waitcnt vmcnt(0)
	v_cmp_eq_u32_e64 s[0:1], v4, v3
	s_and_b64 s[0:1], s[0:1], exec
	s_or_b64 s[4:5], s[4:5], s[0:1]
	v_mov_b32_e32 v3, v4
	s_branch .LBB0_13
.LBB0_16:
	s_endpgm
	.section	.rodata,"a",@progbits
	.p2align	6, 0x0
	.amdhsa_kernel _Z4evalPKfPfmi
		.amdhsa_group_segment_fixed_size 0
		.amdhsa_private_segment_fixed_size 0
		.amdhsa_kernarg_size 288
		.amdhsa_user_sgpr_count 6
		.amdhsa_user_sgpr_private_segment_buffer 1
		.amdhsa_user_sgpr_dispatch_ptr 0
		.amdhsa_user_sgpr_queue_ptr 0
		.amdhsa_user_sgpr_kernarg_segment_ptr 1
		.amdhsa_user_sgpr_dispatch_id 0
		.amdhsa_user_sgpr_flat_scratch_init 0
		.amdhsa_user_sgpr_kernarg_preload_length 0
		.amdhsa_user_sgpr_kernarg_preload_offset 0
		.amdhsa_user_sgpr_private_segment_size 0
		.amdhsa_uses_dynamic_stack 0
		.amdhsa_system_sgpr_private_segment_wavefront_offset 0
		.amdhsa_system_sgpr_workgroup_id_x 1
		.amdhsa_system_sgpr_workgroup_id_y 0
		.amdhsa_system_sgpr_workgroup_id_z 0
		.amdhsa_system_sgpr_workgroup_info 0
		.amdhsa_system_vgpr_workitem_id 0
		.amdhsa_next_free_vgpr 36
		.amdhsa_next_free_sgpr 34
		.amdhsa_accum_offset 36
		.amdhsa_reserve_vcc 1
		.amdhsa_reserve_flat_scratch 0
		.amdhsa_float_round_mode_32 0
		.amdhsa_float_round_mode_16_64 0
		.amdhsa_float_denorm_mode_32 3
		.amdhsa_float_denorm_mode_16_64 3
		.amdhsa_dx10_clamp 1
		.amdhsa_ieee_mode 1
		.amdhsa_fp16_overflow 0
		.amdhsa_tg_split 0
		.amdhsa_exception_fp_ieee_invalid_op 0
		.amdhsa_exception_fp_denorm_src 0
		.amdhsa_exception_fp_ieee_div_zero 0
		.amdhsa_exception_fp_ieee_overflow 0
		.amdhsa_exception_fp_ieee_underflow 0
		.amdhsa_exception_fp_ieee_inexact 0
		.amdhsa_exception_int_div_zero 0
	.end_amdhsa_kernel
	.text
.Lfunc_end0:
	.size	_Z4evalPKfPfmi, .Lfunc_end0-_Z4evalPKfPfmi
                                        ; -- End function
	.section	.AMDGPU.csdata,"",@progbits
; Kernel info:
; codeLenInByte = 2980
; NumSgprs: 38
; NumVgprs: 36
; NumAgprs: 0
; TotalNumVgprs: 36
; ScratchSize: 0
; MemoryBound: 0
; FloatMode: 240
; IeeeMode: 1
; LDSByteSize: 0 bytes/workgroup (compile time only)
; SGPRBlocks: 4
; VGPRBlocks: 4
; NumSGPRsForWavesPerEU: 38
; NumVGPRsForWavesPerEU: 36
; AccumOffset: 36
; Occupancy: 8
; WaveLimiterHint : 0
; COMPUTE_PGM_RSRC2:SCRATCH_EN: 0
; COMPUTE_PGM_RSRC2:USER_SGPR: 6
; COMPUTE_PGM_RSRC2:TRAP_HANDLER: 0
; COMPUTE_PGM_RSRC2:TGID_X_EN: 1
; COMPUTE_PGM_RSRC2:TGID_Y_EN: 0
; COMPUTE_PGM_RSRC2:TGID_Z_EN: 0
; COMPUTE_PGM_RSRC2:TIDIG_COMP_CNT: 0
; COMPUTE_PGM_RSRC3_GFX90A:ACCUM_OFFSET: 8
; COMPUTE_PGM_RSRC3_GFX90A:TG_SPLIT: 0
	.text
	.p2alignl 6, 3212836864
	.fill 256, 4, 3212836864
	.type	__hip_cuid_60cf9156006fa820,@object ; @__hip_cuid_60cf9156006fa820
	.section	.bss,"aw",@nobits
	.globl	__hip_cuid_60cf9156006fa820
__hip_cuid_60cf9156006fa820:
	.byte	0                               ; 0x0
	.size	__hip_cuid_60cf9156006fa820, 1

	.ident	"AMD clang version 19.0.0git (https://github.com/RadeonOpenCompute/llvm-project roc-6.4.0 25133 c7fe45cf4b819c5991fe208aaa96edf142730f1d)"
	.section	".note.GNU-stack","",@progbits
	.addrsig
	.addrsig_sym __hip_cuid_60cf9156006fa820
	.amdgpu_metadata
---
amdhsa.kernels:
  - .agpr_count:     0
    .args:
      - .address_space:  global
        .offset:         0
        .size:           8
        .value_kind:     global_buffer
      - .address_space:  global
        .offset:         8
        .size:           8
        .value_kind:     global_buffer
      - .offset:         16
        .size:           8
        .value_kind:     by_value
      - .offset:         24
        .size:           4
        .value_kind:     by_value
      - .offset:         32
        .size:           4
        .value_kind:     hidden_block_count_x
      - .offset:         36
        .size:           4
        .value_kind:     hidden_block_count_y
      - .offset:         40
        .size:           4
        .value_kind:     hidden_block_count_z
      - .offset:         44
        .size:           2
        .value_kind:     hidden_group_size_x
      - .offset:         46
        .size:           2
        .value_kind:     hidden_group_size_y
      - .offset:         48
        .size:           2
        .value_kind:     hidden_group_size_z
      - .offset:         50
        .size:           2
        .value_kind:     hidden_remainder_x
      - .offset:         52
        .size:           2
        .value_kind:     hidden_remainder_y
      - .offset:         54
        .size:           2
        .value_kind:     hidden_remainder_z
      - .offset:         72
        .size:           8
        .value_kind:     hidden_global_offset_x
      - .offset:         80
        .size:           8
        .value_kind:     hidden_global_offset_y
      - .offset:         88
        .size:           8
        .value_kind:     hidden_global_offset_z
      - .offset:         96
        .size:           2
        .value_kind:     hidden_grid_dims
    .group_segment_fixed_size: 0
    .kernarg_segment_align: 8
    .kernarg_segment_size: 288
    .language:       OpenCL C
    .language_version:
      - 2
      - 0
    .max_flat_workgroup_size: 1024
    .name:           _Z4evalPKfPfmi
    .private_segment_fixed_size: 0
    .sgpr_count:     38
    .sgpr_spill_count: 0
    .symbol:         _Z4evalPKfPfmi.kd
    .uniform_work_group_size: 1
    .uses_dynamic_stack: false
    .vgpr_count:     36
    .vgpr_spill_count: 0
    .wavefront_size: 64
amdhsa.target:   amdgcn-amd-amdhsa--gfx90a
amdhsa.version:
  - 1
  - 2
...

	.end_amdgpu_metadata
